;; amdgpu-corpus repo=ROCm/rocFFT kind=compiled arch=gfx950 opt=O3
	.text
	.amdgcn_target "amdgcn-amd-amdhsa--gfx950"
	.amdhsa_code_object_version 6
	.protected	fft_rtc_fwd_len26_factors_13_2_wgs_64_tpt_2_halfLds_dp_ip_CI_unitstride_sbrr_C2R_dirReg ; -- Begin function fft_rtc_fwd_len26_factors_13_2_wgs_64_tpt_2_halfLds_dp_ip_CI_unitstride_sbrr_C2R_dirReg
	.globl	fft_rtc_fwd_len26_factors_13_2_wgs_64_tpt_2_halfLds_dp_ip_CI_unitstride_sbrr_C2R_dirReg
	.p2align	8
	.type	fft_rtc_fwd_len26_factors_13_2_wgs_64_tpt_2_halfLds_dp_ip_CI_unitstride_sbrr_C2R_dirReg,@function
fft_rtc_fwd_len26_factors_13_2_wgs_64_tpt_2_halfLds_dp_ip_CI_unitstride_sbrr_C2R_dirReg: ; @fft_rtc_fwd_len26_factors_13_2_wgs_64_tpt_2_halfLds_dp_ip_CI_unitstride_sbrr_C2R_dirReg
; %bb.0:
	s_load_dwordx2 s[8:9], s[0:1], 0x50
	s_load_dwordx4 s[4:7], s[0:1], 0x0
	s_load_dwordx2 s[10:11], s[0:1], 0x18
	v_lshrrev_b32_e32 v1, 1, v0
	v_lshl_or_b32 v6, s2, 5, v1
	v_mov_b32_e32 v4, 0
	s_waitcnt lgkmcnt(0)
	v_cmp_lt_u64_e64 s[2:3], s[6:7], 2
	v_mov_b32_e32 v7, v4
	s_and_b64 vcc, exec, s[2:3]
	v_mov_b64_e32 v[2:3], 0
	s_cbranch_vccnz .LBB0_8
; %bb.1:
	s_load_dwordx2 s[2:3], s[0:1], 0x10
	s_add_u32 s12, s10, 8
	s_addc_u32 s13, s11, 0
	s_mov_b64 s[14:15], 1
	v_mov_b64_e32 v[2:3], 0
	s_waitcnt lgkmcnt(0)
	s_add_u32 s16, s2, 8
	s_addc_u32 s17, s3, 0
.LBB0_2:                                ; =>This Inner Loop Header: Depth=1
	s_load_dwordx2 s[18:19], s[16:17], 0x0
                                        ; implicit-def: $vgpr8_vgpr9
	s_waitcnt lgkmcnt(0)
	v_or_b32_e32 v5, s19, v7
	v_cmp_ne_u64_e32 vcc, 0, v[4:5]
	s_and_saveexec_b64 s[2:3], vcc
	s_xor_b64 s[20:21], exec, s[2:3]
	s_cbranch_execz .LBB0_4
; %bb.3:                                ;   in Loop: Header=BB0_2 Depth=1
	v_cvt_f32_u32_e32 v5, s18
	v_cvt_f32_u32_e32 v8, s19
	s_sub_u32 s2, 0, s18
	s_subb_u32 s3, 0, s19
	v_fmac_f32_e32 v5, 0x4f800000, v8
	v_rcp_f32_e32 v5, v5
	s_nop 0
	v_mul_f32_e32 v5, 0x5f7ffffc, v5
	v_mul_f32_e32 v8, 0x2f800000, v5
	v_trunc_f32_e32 v8, v8
	v_fmac_f32_e32 v5, 0xcf800000, v8
	v_cvt_u32_f32_e32 v12, v8
	v_cvt_u32_f32_e32 v5, v5
	v_mul_lo_u32 v8, s2, v12
	v_mul_hi_u32 v10, s2, v5
	v_mul_lo_u32 v9, s3, v5
	v_add_u32_e32 v10, v10, v8
	v_mul_lo_u32 v13, s2, v5
	v_add_u32_e32 v14, v10, v9
	v_mul_hi_u32 v8, v5, v13
	v_mul_hi_u32 v11, v5, v14
	v_mul_lo_u32 v10, v5, v14
	v_mov_b32_e32 v9, v4
	v_lshl_add_u64 v[8:9], v[8:9], 0, v[10:11]
	v_mul_hi_u32 v11, v12, v13
	v_mul_lo_u32 v13, v12, v13
	v_add_co_u32_e32 v8, vcc, v8, v13
	v_mul_hi_u32 v10, v12, v14
	s_nop 0
	v_addc_co_u32_e32 v8, vcc, v9, v11, vcc
	v_mov_b32_e32 v9, v4
	s_nop 0
	v_addc_co_u32_e32 v11, vcc, 0, v10, vcc
	v_mul_lo_u32 v10, v12, v14
	v_lshl_add_u64 v[8:9], v[8:9], 0, v[10:11]
	v_add_co_u32_e32 v5, vcc, v5, v8
	v_mul_lo_u32 v10, s2, v5
	s_nop 0
	v_addc_co_u32_e32 v12, vcc, v12, v9, vcc
	v_mul_lo_u32 v8, s2, v12
	v_mul_hi_u32 v9, s2, v5
	v_add_u32_e32 v8, v9, v8
	v_mul_lo_u32 v9, s3, v5
	v_add_u32_e32 v13, v8, v9
	v_mul_hi_u32 v15, v12, v10
	v_mul_lo_u32 v16, v12, v10
	v_mul_hi_u32 v9, v5, v13
	v_mul_lo_u32 v8, v5, v13
	v_mul_hi_u32 v10, v5, v10
	v_mov_b32_e32 v11, v4
	v_lshl_add_u64 v[8:9], v[10:11], 0, v[8:9]
	v_add_co_u32_e32 v8, vcc, v8, v16
	v_mul_hi_u32 v14, v12, v13
	s_nop 0
	v_addc_co_u32_e32 v8, vcc, v9, v15, vcc
	v_mul_lo_u32 v10, v12, v13
	s_nop 0
	v_addc_co_u32_e32 v11, vcc, 0, v14, vcc
	v_mov_b32_e32 v9, v4
	v_lshl_add_u64 v[8:9], v[8:9], 0, v[10:11]
	v_add_co_u32_e32 v5, vcc, v5, v8
	v_mul_hi_u32 v10, v6, v5
	s_nop 0
	v_addc_co_u32_e32 v12, vcc, v12, v9, vcc
	v_mad_u64_u32 v[8:9], s[2:3], v6, v12, 0
	v_mov_b32_e32 v11, v4
	v_lshl_add_u64 v[8:9], v[10:11], 0, v[8:9]
	v_mad_u64_u32 v[10:11], s[2:3], v7, v12, 0
	v_mad_u64_u32 v[12:13], s[2:3], v7, v5, 0
	v_add_co_u32_e32 v5, vcc, v8, v12
	s_nop 1
	v_addc_co_u32_e32 v8, vcc, v9, v13, vcc
	v_mov_b32_e32 v9, v4
	s_nop 0
	v_addc_co_u32_e32 v11, vcc, 0, v11, vcc
	v_lshl_add_u64 v[8:9], v[8:9], 0, v[10:11]
	v_mul_lo_u32 v5, s19, v8
	v_mul_lo_u32 v12, s18, v9
	v_mad_u64_u32 v[10:11], s[2:3], s18, v8, 0
	v_add3_u32 v5, v11, v12, v5
	v_sub_u32_e32 v11, v7, v5
	v_mov_b32_e32 v12, s19
	v_sub_co_u32_e32 v14, vcc, v6, v10
	s_nop 1
	v_subb_co_u32_e64 v10, s[2:3], v11, v12, vcc
	v_subrev_co_u32_e64 v11, s[2:3], s18, v14
	v_subb_co_u32_e32 v5, vcc, v7, v5, vcc
	s_nop 0
	v_subbrev_co_u32_e64 v10, s[2:3], 0, v10, s[2:3]
	v_cmp_le_u32_e64 s[2:3], s19, v10
	v_cmp_le_u32_e32 vcc, s19, v5
	s_nop 0
	v_cndmask_b32_e64 v12, 0, -1, s[2:3]
	v_cmp_le_u32_e64 s[2:3], s18, v11
	s_nop 1
	v_cndmask_b32_e64 v11, 0, -1, s[2:3]
	v_cmp_eq_u32_e64 s[2:3], s19, v10
	s_nop 1
	v_cndmask_b32_e64 v15, v12, v11, s[2:3]
	v_lshl_add_u64 v[10:11], v[8:9], 0, 2
	v_lshl_add_u64 v[12:13], v[8:9], 0, 1
	v_cmp_ne_u32_e64 s[2:3], 0, v15
	s_nop 1
	v_cndmask_b32_e64 v11, v13, v11, s[2:3]
	v_cndmask_b32_e64 v13, 0, -1, vcc
	v_cmp_le_u32_e32 vcc, s18, v14
	s_nop 1
	v_cndmask_b32_e64 v14, 0, -1, vcc
	v_cmp_eq_u32_e32 vcc, s19, v5
	s_nop 1
	v_cndmask_b32_e32 v5, v13, v14, vcc
	v_cmp_ne_u32_e32 vcc, 0, v5
	v_cndmask_b32_e64 v5, v12, v10, s[2:3]
	s_nop 0
	v_cndmask_b32_e32 v9, v9, v11, vcc
	v_cndmask_b32_e32 v8, v8, v5, vcc
.LBB0_4:                                ;   in Loop: Header=BB0_2 Depth=1
	s_andn2_saveexec_b64 s[2:3], s[20:21]
	s_cbranch_execz .LBB0_6
; %bb.5:                                ;   in Loop: Header=BB0_2 Depth=1
	v_cvt_f32_u32_e32 v5, s18
	s_sub_i32 s20, 0, s18
	v_rcp_iflag_f32_e32 v5, v5
	s_nop 0
	v_mul_f32_e32 v5, 0x4f7ffffe, v5
	v_cvt_u32_f32_e32 v5, v5
	v_mul_lo_u32 v8, s20, v5
	v_mul_hi_u32 v8, v5, v8
	v_add_u32_e32 v5, v5, v8
	v_mul_hi_u32 v5, v6, v5
	v_mul_lo_u32 v8, v5, s18
	v_sub_u32_e32 v8, v6, v8
	v_add_u32_e32 v9, 1, v5
	v_subrev_u32_e32 v10, s18, v8
	v_cmp_le_u32_e32 vcc, s18, v8
	s_nop 1
	v_cndmask_b32_e32 v8, v8, v10, vcc
	v_cndmask_b32_e32 v5, v5, v9, vcc
	v_add_u32_e32 v9, 1, v5
	v_cmp_le_u32_e32 vcc, s18, v8
	s_nop 1
	v_cndmask_b32_e32 v8, v5, v9, vcc
	v_mov_b32_e32 v9, v4
.LBB0_6:                                ;   in Loop: Header=BB0_2 Depth=1
	s_or_b64 exec, exec, s[2:3]
	v_mad_u64_u32 v[10:11], s[2:3], v8, s18, 0
	s_load_dwordx2 s[2:3], s[12:13], 0x0
	v_mul_lo_u32 v5, v9, s18
	v_mul_lo_u32 v12, v8, s19
	v_add3_u32 v5, v11, v12, v5
	v_sub_co_u32_e32 v6, vcc, v6, v10
	s_add_u32 s14, s14, 1
	s_nop 0
	v_subb_co_u32_e32 v5, vcc, v7, v5, vcc
	s_addc_u32 s15, s15, 0
	s_waitcnt lgkmcnt(0)
	v_mul_lo_u32 v5, s2, v5
	v_mul_lo_u32 v7, s3, v6
	v_mad_u64_u32 v[2:3], s[2:3], s2, v6, v[2:3]
	s_add_u32 s12, s12, 8
	v_add3_u32 v3, v7, v3, v5
	s_addc_u32 s13, s13, 0
	v_mov_b64_e32 v[6:7], s[6:7]
	s_add_u32 s16, s16, 8
	v_cmp_ge_u64_e32 vcc, s[14:15], v[6:7]
	s_addc_u32 s17, s17, 0
	s_cbranch_vccnz .LBB0_9
; %bb.7:                                ;   in Loop: Header=BB0_2 Depth=1
	v_mov_b64_e32 v[6:7], v[8:9]
	s_branch .LBB0_2
.LBB0_8:
	v_mov_b64_e32 v[8:9], v[6:7]
.LBB0_9:
	s_lshl_b64 s[2:3], s[6:7], 3
	s_add_u32 s2, s10, s2
	s_addc_u32 s3, s11, s3
	s_load_dwordx2 s[6:7], s[2:3], 0x0
	s_load_dwordx2 s[10:11], s[0:1], 0x20
	v_mul_u32_u24_e32 v78, 27, v1
	v_mov_b32_e32 v59, 0
	v_lshlrev_b32_e32 v81, 4, v78
	s_waitcnt lgkmcnt(0)
	v_mul_lo_u32 v4, s6, v9
	v_mul_lo_u32 v5, s7, v8
	v_mad_u64_u32 v[2:3], s[0:1], s6, v8, v[2:3]
	v_add3_u32 v3, v5, v3, v4
	v_and_b32_e32 v4, 1, v0
	v_cmp_gt_u64_e32 vcc, s[10:11], v[8:9]
	v_lshl_add_u64 v[56:57], v[2:3], 4, s[8:9]
	v_mov_b32_e32 v83, v4
	s_and_saveexec_b64 s[2:3], vcc
	s_cbranch_execz .LBB0_13
; %bb.10:
	v_lshlrev_b32_e32 v58, 4, v4
	v_lshl_add_u64 v[0:1], v[56:57], 0, v[58:59]
	global_load_dwordx4 v[6:9], v[0:1], off
	global_load_dwordx4 v[10:13], v[0:1], off offset:32
	global_load_dwordx4 v[14:17], v[0:1], off offset:64
	;; [unrolled: 1-line block ×12, first 2 shown]
	v_cmp_ne_u32_e64 s[0:1], 0, v4
	v_add3_u32 v5, 0, v81, v58
	v_mov_b64_e32 v[2:3], 0
	s_waitcnt vmcnt(12)
	ds_write_b128 v5, v[6:9]
	s_waitcnt vmcnt(11)
	ds_write_b128 v5, v[10:13] offset:32
	s_waitcnt vmcnt(10)
	ds_write_b128 v5, v[14:17] offset:64
	;; [unrolled: 2-line block ×12, first 2 shown]
	s_and_saveexec_b64 s[6:7], s[0:1]
	s_cbranch_execz .LBB0_12
; %bb.11:
	global_load_dwordx4 v[0:3], v[0:1], off offset:400
	v_mov_b32_e32 v59, 1
	s_waitcnt vmcnt(0)
	ds_write_b128 v5, v[0:3] offset:400
	v_mov_b64_e32 v[2:3], v[4:5]
.LBB0_12:
	s_or_b64 exec, exec, s[6:7]
	v_mov_b64_e32 v[4:5], v[2:3]
	v_mov_b32_e32 v83, v59
.LBB0_13:
	s_or_b64 exec, exec, s[2:3]
	v_lshl_add_u32 v58, v78, 4, 0
	v_lshlrev_b32_e32 v79, 4, v83
	v_add_u32_e32 v82, v58, v79
	s_waitcnt lgkmcnt(0)
	; wave barrier
	s_waitcnt lgkmcnt(0)
	v_sub_u32_e32 v10, v58, v79
	ds_read_b64 v[6:7], v82
	ds_read_b64 v[8:9], v10 offset:416
	v_cmp_eq_u32_e64 s[0:1], 0, v83
	v_cmp_ne_u32_e64 s[2:3], 0, v83
	v_lshlrev_b32_e32 v80, 4, v4
	s_waitcnt lgkmcnt(0)
	v_add_f64 v[0:1], v[6:7], v[8:9]
	v_add_f64 v[2:3], v[6:7], -v[8:9]
	s_and_saveexec_b64 s[6:7], s[2:3]
	s_xor_b64 s[2:3], exec, s[6:7]
	s_cbranch_execz .LBB0_15
; %bb.14:
	global_load_dwordx4 v[12:15], v80, s[4:5] offset:208
	ds_read_b64 v[0:1], v10 offset:424
	ds_read_b64 v[2:3], v82 offset:8
	v_add_f64 v[4:5], v[6:7], v[8:9]
	v_add_f64 v[8:9], v[6:7], -v[8:9]
	s_waitcnt lgkmcnt(0)
	v_add_f64 v[16:17], v[0:1], v[2:3]
	v_add_f64 v[0:1], v[2:3], -v[0:1]
	s_waitcnt vmcnt(0)
	v_fma_f64 v[18:19], v[8:9], v[14:15], v[4:5]
	v_fma_f64 v[4:5], -v[8:9], v[14:15], v[4:5]
	v_fma_f64 v[6:7], v[16:17], v[14:15], -v[0:1]
	v_fma_f64 v[2:3], v[16:17], v[14:15], v[0:1]
	v_fmac_f64_e32 v[4:5], v[16:17], v[12:13]
	v_fmac_f64_e32 v[6:7], v[8:9], v[12:13]
	v_fma_f64 v[0:1], -v[16:17], v[12:13], v[18:19]
	v_fmac_f64_e32 v[2:3], v[8:9], v[12:13]
	ds_write_b128 v10, v[4:7] offset:416
.LBB0_15:
	s_andn2_saveexec_b64 s[2:3], s[2:3]
	s_cbranch_execz .LBB0_17
; %bb.16:
	ds_read_b128 v[4:7], v58 offset:208
	s_waitcnt lgkmcnt(0)
	v_add_f64 v[4:5], v[4:5], v[4:5]
	v_mul_f64 v[6:7], v[6:7], -2.0
	ds_write_b128 v58, v[4:7] offset:208
.LBB0_17:
	s_or_b64 exec, exec, s[2:3]
	s_add_u32 s2, s4, 0xd0
	s_addc_u32 s3, s5, 0
	global_load_dwordx4 v[4:7], v79, s[2:3] offset:32
	global_load_dwordx4 v[12:15], v79, s[2:3] offset:64
	;; [unrolled: 1-line block ×4, first 2 shown]
	ds_write_b128 v82, v[0:3]
	ds_read_b128 v[0:3], v82 offset:32
	ds_read_b128 v[24:27], v10 offset:384
	global_load_dwordx4 v[28:31], v79, s[2:3] offset:160
	s_waitcnt lgkmcnt(0)
	v_add_f64 v[8:9], v[0:1], v[24:25]
	v_add_f64 v[32:33], v[26:27], v[2:3]
	v_add_f64 v[34:35], v[0:1], -v[24:25]
	v_add_f64 v[0:1], v[2:3], -v[26:27]
	s_waitcnt vmcnt(4)
	v_fma_f64 v[36:37], v[34:35], v[6:7], v[8:9]
	v_fma_f64 v[2:3], v[32:33], v[6:7], v[0:1]
	v_fma_f64 v[24:25], -v[34:35], v[6:7], v[8:9]
	v_fma_f64 v[26:27], v[32:33], v[6:7], -v[0:1]
	v_fma_f64 v[0:1], -v[32:33], v[4:5], v[36:37]
	v_fmac_f64_e32 v[2:3], v[34:35], v[4:5]
	v_fmac_f64_e32 v[24:25], v[32:33], v[4:5]
	v_fmac_f64_e32 v[26:27], v[34:35], v[4:5]
	ds_write_b128 v82, v[0:3] offset:32
	ds_write_b128 v10, v[24:27] offset:384
	ds_read_b128 v[0:3], v82 offset:64
	ds_read_b128 v[4:7], v10 offset:352
	s_waitcnt lgkmcnt(0)
	v_add_f64 v[8:9], v[0:1], v[4:5]
	v_add_f64 v[24:25], v[6:7], v[2:3]
	v_add_f64 v[26:27], v[0:1], -v[4:5]
	v_add_f64 v[0:1], v[2:3], -v[6:7]
	s_waitcnt vmcnt(3)
	v_fma_f64 v[32:33], v[26:27], v[14:15], v[8:9]
	v_fma_f64 v[2:3], v[24:25], v[14:15], v[0:1]
	v_fma_f64 v[4:5], -v[26:27], v[14:15], v[8:9]
	v_fma_f64 v[6:7], v[24:25], v[14:15], -v[0:1]
	v_fma_f64 v[0:1], -v[24:25], v[12:13], v[32:33]
	v_fmac_f64_e32 v[2:3], v[26:27], v[12:13]
	v_fmac_f64_e32 v[4:5], v[24:25], v[12:13]
	v_fmac_f64_e32 v[6:7], v[26:27], v[12:13]
	ds_write_b128 v82, v[0:3] offset:64
	ds_write_b128 v10, v[4:7] offset:352
	ds_read_b128 v[0:3], v82 offset:96
	ds_read_b128 v[4:7], v10 offset:320
	;; [unrolled: 18-line block ×4, first 2 shown]
	s_waitcnt lgkmcnt(0)
	v_add_f64 v[8:9], v[0:1], v[4:5]
	v_add_f64 v[12:13], v[6:7], v[2:3]
	v_add_f64 v[14:15], v[0:1], -v[4:5]
	v_add_f64 v[0:1], v[2:3], -v[6:7]
	s_waitcnt vmcnt(0)
	v_fma_f64 v[16:17], v[14:15], v[30:31], v[8:9]
	v_fma_f64 v[2:3], v[12:13], v[30:31], v[0:1]
	v_fma_f64 v[4:5], -v[14:15], v[30:31], v[8:9]
	v_fma_f64 v[6:7], v[12:13], v[30:31], -v[0:1]
	v_fma_f64 v[0:1], -v[12:13], v[28:29], v[16:17]
	v_fmac_f64_e32 v[2:3], v[14:15], v[28:29]
	v_fmac_f64_e32 v[4:5], v[12:13], v[28:29]
	;; [unrolled: 1-line block ×3, first 2 shown]
	ds_write_b128 v82, v[0:3] offset:160
	ds_write_b128 v10, v[4:7] offset:256
	s_and_saveexec_b64 s[2:3], s[0:1]
	s_cbranch_execz .LBB0_19
; %bb.18:
	ds_read_b128 v[0:3], v58 offset:192
	ds_read_b128 v[4:7], v58 offset:224
	s_load_dwordx4 s[8:11], s[4:5], 0x190
	s_waitcnt lgkmcnt(0)
	v_add_f64 v[8:9], v[0:1], v[4:5]
	v_add_f64 v[10:11], v[6:7], v[2:3]
	v_add_f64 v[4:5], v[0:1], -v[4:5]
	v_add_f64 v[6:7], v[2:3], -v[6:7]
	v_fma_f64 v[0:1], s[10:11], v[4:5], v[8:9]
	v_fma_f64 v[2:3], s[10:11], v[10:11], v[6:7]
	v_fma_f64 v[0:1], -v[10:11], s[8:9], v[0:1]
	v_fmac_f64_e32 v[2:3], s[8:9], v[4:5]
	ds_write_b128 v58, v[0:3] offset:192
	v_fma_f64 v[0:1], -v[4:5], s[10:11], v[8:9]
	v_fma_f64 v[2:3], v[10:11], s[10:11], -v[6:7]
	v_fmac_f64_e32 v[0:1], s[8:9], v[10:11]
	v_fmac_f64_e32 v[2:3], s[8:9], v[4:5]
	ds_write_b128 v58, v[0:3] offset:224
.LBB0_19:
	s_or_b64 exec, exec, s[2:3]
	v_lshl_add_u32 v85, v83, 4, 0
	s_waitcnt lgkmcnt(0)
	; wave barrier
	s_waitcnt lgkmcnt(0)
	s_waitcnt lgkmcnt(0)
	; wave barrier
	s_waitcnt lgkmcnt(0)
	v_add_u32_e32 v84, v85, v81
	ds_read_b128 v[4:7], v82
	ds_read_b128 v[44:47], v84 offset:32
	ds_read_b128 v[36:39], v84 offset:64
	;; [unrolled: 1-line block ×11, first 2 shown]
	s_waitcnt lgkmcnt(10)
	v_add_f64 v[0:1], v[4:5], v[44:45]
	s_waitcnt lgkmcnt(9)
	v_add_f64 v[0:1], v[0:1], v[36:37]
	v_add_f64 v[2:3], v[6:7], v[46:47]
	s_waitcnt lgkmcnt(8)
	v_add_f64 v[0:1], v[0:1], v[32:33]
	;; [unrolled: 3-line block ×6, first 2 shown]
	ds_read_b128 v[62:65], v84 offset:384
	v_add_f64 v[2:3], v[2:3], v[10:11]
	s_waitcnt lgkmcnt(4)
	v_add_f64 v[0:1], v[0:1], v[20:21]
	v_add_f64 v[2:3], v[2:3], v[14:15]
	s_waitcnt lgkmcnt(3)
	v_add_f64 v[0:1], v[0:1], v[28:29]
	;; [unrolled: 3-line block ×4, first 2 shown]
	s_mov_b32 s22, 0x42a4c3d2
	s_mov_b32 s24, 0x66966769
	;; [unrolled: 1-line block ×5, first 2 shown]
	v_add_f64 v[2:3], v[2:3], v[42:43]
	s_waitcnt lgkmcnt(0)
	v_add_f64 v[0:1], v[0:1], v[62:63]
	v_add_f64 v[60:61], v[44:45], v[62:63]
	v_add_f64 v[54:55], v[44:45], -v[62:63]
	v_add_f64 v[62:63], v[46:47], -v[64:65]
	s_mov_b32 s17, 0xbfddbe06
	s_mov_b32 s16, 0x4267c47c
	;; [unrolled: 1-line block ×13, first 2 shown]
	v_add_f64 v[2:3], v[2:3], v[50:51]
	v_add_f64 v[44:45], v[38:39], v[50:51]
	v_add_f64 v[38:39], v[38:39], -v[50:51]
	v_add_f64 v[50:51], v[32:33], v[40:41]
	v_add_f64 v[32:33], v[32:33], -v[40:41]
	;; [unrolled: 2-line block ×5, first 2 shown]
	s_mov_b32 s9, 0x3fec55a7
	v_mul_f64 v[8:9], v[62:63], s[16:17]
	s_mov_b32 s7, 0x3fe22d96
	v_mul_f64 v[12:13], v[62:63], s[22:23]
	;; [unrolled: 2-line block ×5, first 2 shown]
	v_mul_f64 v[88:89], v[62:63], s[28:29]
	s_mov_b32 s21, 0xbfef11f4
	v_add_f64 v[2:3], v[2:3], v[64:65]
	v_add_f64 v[52:53], v[46:47], v[64:65]
	v_add_f64 v[46:47], v[36:37], v[48:49]
	v_add_f64 v[36:37], v[36:37], -v[48:49]
	v_add_f64 v[48:49], v[34:35], v[42:43]
	v_add_f64 v[34:35], v[34:35], -v[42:43]
	v_add_f64 v[42:43], v[24:25], v[28:29]
	;; [unrolled: 2-line block ×4, first 2 shown]
	v_add_f64 v[70:71], v[10:11], -v[14:15]
	v_fma_f64 v[10:11], v[60:61], s[8:9], -v[8:9]
	v_fmac_f64_e32 v[8:9], s[8:9], v[60:61]
	v_fma_f64 v[14:15], v[60:61], s[6:7], -v[12:13]
	v_fmac_f64_e32 v[12:13], s[6:7], v[60:61]
	;; [unrolled: 2-line block ×6, first 2 shown]
	v_mul_f64 v[60:61], v[54:55], s[16:17]
	v_mul_f64 v[92:93], v[54:55], s[22:23]
	v_mul_f64 v[96:97], v[54:55], s[24:25]
	v_mul_f64 v[100:101], v[54:55], s[14:15]
	v_mul_f64 v[104:105], v[54:55], s[18:19]
	v_mul_f64 v[54:55], v[54:55], s[28:29]
	v_fma_f64 v[90:91], s[8:9], v[52:53], v[60:61]
	v_fma_f64 v[60:61], v[52:53], s[8:9], -v[60:61]
	v_fma_f64 v[94:95], s[6:7], v[52:53], v[92:93]
	v_fma_f64 v[92:93], v[52:53], s[6:7], -v[92:93]
	;; [unrolled: 2-line block ×6, first 2 shown]
	v_add_f64 v[10:11], v[4:5], v[10:11]
	v_add_f64 v[110:111], v[4:5], v[8:9]
	;; [unrolled: 1-line block ×12, first 2 shown]
	v_mul_f64 v[4:5], v[38:39], s[22:23]
	v_add_f64 v[90:91], v[6:7], v[90:91]
	v_add_f64 v[112:113], v[6:7], v[60:61]
	;; [unrolled: 1-line block ×12, first 2 shown]
	v_fma_f64 v[6:7], v[46:47], s[6:7], -v[4:5]
	v_mul_f64 v[16:17], v[36:37], s[22:23]
	v_mul_f64 v[18:19], v[34:35], s[24:25]
	v_add_f64 v[6:7], v[6:7], v[10:11]
	v_fma_f64 v[8:9], s[6:7], v[44:45], v[16:17]
	v_fma_f64 v[10:11], v[50:51], s[2:3], -v[18:19]
	v_mul_f64 v[86:87], v[32:33], s[24:25]
	v_add_f64 v[8:9], v[8:9], v[90:91]
	v_add_f64 v[6:7], v[10:11], v[6:7]
	v_fma_f64 v[10:11], s[2:3], v[48:49], v[86:87]
	v_mul_f64 v[88:89], v[26:27], s[14:15]
	v_add_f64 v[8:9], v[10:11], v[8:9]
	v_fma_f64 v[10:11], v[42:43], s[10:11], -v[88:89]
	v_mul_f64 v[90:91], v[24:25], s[14:15]
	v_add_f64 v[6:7], v[10:11], v[6:7]
	v_fma_f64 v[10:11], s[10:11], v[40:41], v[90:91]
	v_mul_f64 v[104:105], v[22:23], s[18:19]
	v_fmac_f64_e32 v[4:5], s[6:7], v[46:47]
	v_add_f64 v[8:9], v[10:11], v[8:9]
	v_fma_f64 v[10:11], v[30:31], s[12:13], -v[104:105]
	v_mul_f64 v[106:107], v[20:21], s[18:19]
	v_add_f64 v[4:5], v[4:5], v[110:111]
	v_fma_f64 v[16:17], v[44:45], s[6:7], -v[16:17]
	v_fmac_f64_e32 v[18:19], s[2:3], v[50:51]
	v_add_f64 v[6:7], v[10:11], v[6:7]
	v_fma_f64 v[10:11], s[12:13], v[28:29], v[106:107]
	v_mul_f64 v[108:109], v[70:71], s[28:29]
	v_add_f64 v[16:17], v[16:17], v[112:113]
	v_add_f64 v[4:5], v[18:19], v[4:5]
	v_fma_f64 v[18:19], v[48:49], s[2:3], -v[86:87]
	v_add_f64 v[10:11], v[10:11], v[8:9]
	v_fma_f64 v[8:9], v[66:67], s[20:21], -v[108:109]
	;; [unrolled: 2-line block ×3, first 2 shown]
	v_add_f64 v[8:9], v[8:9], v[6:7]
	v_mul_f64 v[6:7], v[68:69], s[28:29]
	v_add_f64 v[16:17], v[18:19], v[16:17]
	v_fma_f64 v[18:19], v[28:29], s[12:13], -v[106:107]
	v_fma_f64 v[124:125], s[20:21], v[64:65], v[6:7]
	v_fmac_f64_e32 v[88:89], s[10:11], v[42:43]
	v_add_f64 v[16:17], v[18:19], v[16:17]
	v_fma_f64 v[6:7], v[64:65], s[20:21], -v[6:7]
	v_mul_f64 v[86:87], v[38:39], s[14:15]
	v_add_f64 v[4:5], v[88:89], v[4:5]
	v_add_f64 v[6:7], v[6:7], v[16:17]
	v_fma_f64 v[16:17], v[46:47], s[10:11], -v[86:87]
	v_mul_f64 v[88:89], v[36:37], s[14:15]
	v_add_f64 v[14:15], v[16:17], v[14:15]
	v_fma_f64 v[16:17], s[10:11], v[44:45], v[88:89]
	v_mul_f64 v[90:91], v[34:35], s[28:29]
	v_fmac_f64_e32 v[104:105], s[12:13], v[30:31]
	v_add_f64 v[16:17], v[16:17], v[94:95]
	v_fma_f64 v[18:19], v[50:51], s[20:21], -v[90:91]
	v_mul_f64 v[94:95], v[32:33], s[28:29]
	s_mov_b32 s31, 0x3fe5384d
	s_mov_b32 s30, s18
	v_add_f64 v[4:5], v[104:105], v[4:5]
	v_add_f64 v[14:15], v[18:19], v[14:15]
	v_fma_f64 v[18:19], s[20:21], v[48:49], v[94:95]
	v_mul_f64 v[104:105], v[26:27], s[30:31]
	v_fmac_f64_e32 v[108:109], s[20:21], v[66:67]
	v_add_f64 v[16:17], v[18:19], v[16:17]
	v_fma_f64 v[18:19], v[42:43], s[12:13], -v[104:105]
	v_mul_f64 v[106:107], v[24:25], s[30:31]
	s_mov_b32 s27, 0x3fefc445
	s_mov_b32 s26, s24
	v_add_f64 v[4:5], v[108:109], v[4:5]
	v_add_f64 v[14:15], v[18:19], v[14:15]
	v_fma_f64 v[18:19], s[12:13], v[40:41], v[106:107]
	v_mul_f64 v[108:109], v[22:23], s[26:27]
	v_fmac_f64_e32 v[86:87], s[10:11], v[46:47]
	v_add_f64 v[16:17], v[18:19], v[16:17]
	v_fma_f64 v[18:19], v[30:31], s[2:3], -v[108:109]
	v_mul_f64 v[110:111], v[20:21], s[26:27]
	s_mov_b32 s17, 0x3fddbe06
	v_add_f64 v[12:13], v[86:87], v[12:13]
	v_fma_f64 v[86:87], v[44:45], s[10:11], -v[88:89]
	v_add_f64 v[14:15], v[18:19], v[14:15]
	v_fma_f64 v[18:19], s[2:3], v[28:29], v[110:111]
	v_mul_f64 v[112:113], v[70:71], s[16:17]
	v_add_f64 v[86:87], v[86:87], v[92:93]
	v_fma_f64 v[88:89], v[48:49], s[20:21], -v[94:95]
	v_add_f64 v[18:19], v[18:19], v[16:17]
	v_fma_f64 v[16:17], v[66:67], s[8:9], -v[112:113]
	;; [unrolled: 2-line block ×3, first 2 shown]
	v_add_f64 v[16:17], v[16:17], v[14:15]
	v_mul_f64 v[14:15], v[68:69], s[16:17]
	v_fmac_f64_e32 v[90:91], s[20:21], v[50:51]
	v_add_f64 v[86:87], v[88:89], v[86:87]
	v_fma_f64 v[88:89], v[28:29], s[2:3], -v[110:111]
	v_add_f64 v[10:11], v[124:125], v[10:11]
	v_fma_f64 v[124:125], s[8:9], v[64:65], v[14:15]
	v_add_f64 v[12:13], v[90:91], v[12:13]
	v_add_f64 v[86:87], v[88:89], v[86:87]
	v_fma_f64 v[14:15], v[64:65], s[8:9], -v[14:15]
	v_mul_f64 v[90:91], v[38:39], s[28:29]
	v_mul_f64 v[92:93], v[36:37], s[28:29]
	s_mov_b32 s35, 0x3fedeba7
	s_mov_b32 s34, s14
	v_add_f64 v[14:15], v[14:15], v[86:87]
	v_fma_f64 v[86:87], v[46:47], s[20:21], -v[90:91]
	v_fma_f64 v[88:89], s[20:21], v[44:45], v[92:93]
	v_mul_f64 v[94:95], v[34:35], s[34:35]
	v_add_f64 v[86:87], v[86:87], v[114:115]
	v_add_f64 v[88:89], v[88:89], v[98:99]
	v_fma_f64 v[98:99], v[50:51], s[10:11], -v[94:95]
	v_fmac_f64_e32 v[104:105], s[12:13], v[42:43]
	v_add_f64 v[86:87], v[98:99], v[86:87]
	v_mul_f64 v[98:99], v[32:33], s[34:35]
	v_add_f64 v[12:13], v[104:105], v[12:13]
	v_fma_f64 v[104:105], s[10:11], v[48:49], v[98:99]
	v_add_f64 v[88:89], v[104:105], v[88:89]
	v_mul_f64 v[104:105], v[26:27], s[16:17]
	v_fma_f64 v[106:107], v[42:43], s[8:9], -v[104:105]
	v_fmac_f64_e32 v[108:109], s[2:3], v[30:31]
	v_add_f64 v[86:87], v[106:107], v[86:87]
	v_mul_f64 v[106:107], v[24:25], s[16:17]
	v_add_f64 v[12:13], v[108:109], v[12:13]
	v_fma_f64 v[108:109], s[8:9], v[40:41], v[106:107]
	v_add_f64 v[88:89], v[108:109], v[88:89]
	v_mul_f64 v[108:109], v[22:23], s[22:23]
	v_fma_f64 v[110:111], v[30:31], s[6:7], -v[108:109]
	v_fmac_f64_e32 v[112:113], s[8:9], v[66:67]
	v_add_f64 v[86:87], v[110:111], v[86:87]
	v_mul_f64 v[110:111], v[20:21], s[22:23]
	v_fmac_f64_e32 v[90:91], s[20:21], v[46:47]
	v_add_f64 v[12:13], v[112:113], v[12:13]
	v_fma_f64 v[112:113], s[6:7], v[28:29], v[110:111]
	v_add_f64 v[90:91], v[90:91], v[116:117]
	v_fma_f64 v[92:93], v[44:45], s[20:21], -v[92:93]
	v_fmac_f64_e32 v[94:95], s[10:11], v[50:51]
	v_add_f64 v[88:89], v[112:113], v[88:89]
	v_mul_f64 v[112:113], v[70:71], s[18:19]
	v_add_f64 v[92:93], v[92:93], v[96:97]
	v_add_f64 v[90:91], v[94:95], v[90:91]
	v_fma_f64 v[94:95], v[48:49], s[10:11], -v[98:99]
	v_fma_f64 v[114:115], v[66:67], s[12:13], -v[112:113]
	v_add_f64 v[92:93], v[94:95], v[92:93]
	v_fmac_f64_e32 v[104:105], s[8:9], v[42:43]
	v_fma_f64 v[94:95], v[40:41], s[8:9], -v[106:107]
	v_add_f64 v[86:87], v[114:115], v[86:87]
	v_mul_f64 v[114:115], v[68:69], s[18:19]
	v_add_f64 v[90:91], v[104:105], v[90:91]
	v_add_f64 v[92:93], v[94:95], v[92:93]
	v_fma_f64 v[94:95], v[28:29], s[6:7], -v[110:111]
	v_mul_f64 v[104:105], v[36:37], s[30:31]
	v_add_f64 v[92:93], v[94:95], v[92:93]
	v_fma_f64 v[94:95], v[64:65], s[12:13], -v[114:115]
	v_mul_f64 v[98:99], v[38:39], s[30:31]
	v_fma_f64 v[96:97], s[12:13], v[44:45], v[104:105]
	v_add_f64 v[92:93], v[94:95], v[92:93]
	v_fma_f64 v[94:95], v[46:47], s[12:13], -v[98:99]
	v_add_f64 v[96:97], v[96:97], v[102:103]
	v_mul_f64 v[102:103], v[34:35], s[16:17]
	v_add_f64 v[94:95], v[94:95], v[118:119]
	v_fma_f64 v[106:107], v[50:51], s[8:9], -v[102:103]
	v_fmac_f64_e32 v[108:109], s[6:7], v[30:31]
	v_add_f64 v[94:95], v[106:107], v[94:95]
	v_mul_f64 v[106:107], v[32:33], s[16:17]
	v_add_f64 v[90:91], v[108:109], v[90:91]
	v_fma_f64 v[108:109], s[8:9], v[48:49], v[106:107]
	v_add_f64 v[96:97], v[108:109], v[96:97]
	v_mul_f64 v[108:109], v[26:27], s[24:25]
	v_fma_f64 v[110:111], v[42:43], s[2:3], -v[108:109]
	v_fmac_f64_e32 v[112:113], s[12:13], v[66:67]
	v_add_f64 v[94:95], v[110:111], v[94:95]
	v_mul_f64 v[110:111], v[24:25], s[24:25]
	v_add_f64 v[90:91], v[112:113], v[90:91]
	v_fma_f64 v[112:113], s[2:3], v[40:41], v[110:111]
	s_mov_b32 s29, 0x3fcea1e5
	v_add_f64 v[96:97], v[112:113], v[96:97]
	v_mul_f64 v[112:113], v[22:23], s[28:29]
	v_add_f64 v[18:19], v[124:125], v[18:19]
	v_fma_f64 v[124:125], s[12:13], v[64:65], v[114:115]
	v_fma_f64 v[114:115], v[30:31], s[20:21], -v[112:113]
	v_add_f64 v[94:95], v[114:115], v[94:95]
	v_mul_f64 v[114:115], v[20:21], s[28:29]
	v_fmac_f64_e32 v[98:99], s[12:13], v[46:47]
	v_fma_f64 v[116:117], s[20:21], v[28:29], v[114:115]
	s_mov_b32 s25, 0x3fea55e2
	s_mov_b32 s24, s22
	v_add_f64 v[98:99], v[98:99], v[120:121]
	v_fma_f64 v[104:105], v[44:45], s[12:13], -v[104:105]
	v_fmac_f64_e32 v[102:103], s[8:9], v[50:51]
	v_add_f64 v[96:97], v[116:117], v[96:97]
	v_mul_f64 v[116:117], v[70:71], s[24:25]
	v_add_f64 v[100:101], v[104:105], v[100:101]
	v_add_f64 v[98:99], v[102:103], v[98:99]
	v_fma_f64 v[102:103], v[48:49], s[8:9], -v[106:107]
	v_fma_f64 v[118:119], v[66:67], s[6:7], -v[116:117]
	v_add_f64 v[100:101], v[102:103], v[100:101]
	v_fma_f64 v[102:103], v[40:41], s[2:3], -v[110:111]
	v_add_f64 v[94:95], v[118:119], v[94:95]
	v_mul_f64 v[118:119], v[68:69], s[24:25]
	v_fmac_f64_e32 v[108:109], s[2:3], v[42:43]
	v_add_f64 v[100:101], v[102:103], v[100:101]
	v_fma_f64 v[102:103], v[28:29], s[20:21], -v[114:115]
	v_add_f64 v[98:99], v[108:109], v[98:99]
	v_add_f64 v[100:101], v[102:103], v[100:101]
	v_fma_f64 v[102:103], v[64:65], s[6:7], -v[118:119]
	v_mul_f64 v[106:107], v[38:39], s[26:27]
	v_mul_f64 v[108:109], v[36:37], s[26:27]
	v_fmac_f64_e32 v[112:113], s[20:21], v[30:31]
	v_add_f64 v[100:101], v[102:103], v[100:101]
	v_fma_f64 v[102:103], v[46:47], s[2:3], -v[106:107]
	v_fma_f64 v[104:105], s[2:3], v[44:45], v[108:109]
	v_mul_f64 v[110:111], v[34:35], s[22:23]
	v_add_f64 v[98:99], v[112:113], v[98:99]
	v_add_f64 v[102:103], v[102:103], v[122:123]
	;; [unrolled: 1-line block ×3, first 2 shown]
	v_fma_f64 v[104:105], v[50:51], s[6:7], -v[110:111]
	v_mul_f64 v[112:113], v[32:33], s[22:23]
	v_fmac_f64_e32 v[116:117], s[6:7], v[66:67]
	v_add_f64 v[102:103], v[104:105], v[102:103]
	v_fma_f64 v[104:105], s[6:7], v[48:49], v[112:113]
	v_mul_f64 v[114:115], v[26:27], s[28:29]
	v_add_f64 v[98:99], v[116:117], v[98:99]
	v_add_f64 v[76:77], v[104:105], v[76:77]
	v_fma_f64 v[104:105], v[42:43], s[20:21], -v[114:115]
	v_mul_f64 v[116:117], v[24:25], s[28:29]
	v_add_f64 v[88:89], v[124:125], v[88:89]
	v_fma_f64 v[124:125], s[6:7], v[64:65], v[118:119]
	v_add_f64 v[102:103], v[104:105], v[102:103]
	v_fma_f64 v[104:105], s[20:21], v[40:41], v[116:117]
	v_mul_f64 v[118:119], v[22:23], s[16:17]
	v_add_f64 v[76:77], v[104:105], v[76:77]
	v_fma_f64 v[104:105], v[30:31], s[8:9], -v[118:119]
	v_mul_f64 v[120:121], v[20:21], s[16:17]
	v_add_f64 v[102:103], v[104:105], v[102:103]
	v_fma_f64 v[104:105], s[8:9], v[28:29], v[120:121]
	v_mul_f64 v[122:123], v[70:71], s[14:15]
	v_add_f64 v[96:97], v[124:125], v[96:97]
	v_add_f64 v[76:77], v[104:105], v[76:77]
	v_fma_f64 v[104:105], v[66:67], s[10:11], -v[122:123]
	v_mul_f64 v[124:125], v[68:69], s[14:15]
	v_add_f64 v[102:103], v[104:105], v[102:103]
	v_fma_f64 v[104:105], s[10:11], v[64:65], v[124:125]
	v_fmac_f64_e32 v[106:107], s[2:3], v[46:47]
	v_add_f64 v[104:105], v[104:105], v[76:77]
	v_add_f64 v[74:75], v[106:107], v[74:75]
	v_fma_f64 v[76:77], v[44:45], s[2:3], -v[108:109]
	v_fmac_f64_e32 v[110:111], s[6:7], v[50:51]
	v_add_f64 v[72:73], v[76:77], v[72:73]
	v_add_f64 v[74:75], v[110:111], v[74:75]
	v_fma_f64 v[76:77], v[48:49], s[6:7], -v[112:113]
	;; [unrolled: 4-line block ×5, first 2 shown]
	v_mul_f64 v[38:39], v[38:39], s[16:17]
	v_add_f64 v[74:75], v[74:75], v[76:77]
	v_fma_f64 v[76:77], v[46:47], s[8:9], -v[38:39]
	v_mul_f64 v[36:37], v[36:37], s[16:17]
	v_add_f64 v[62:63], v[76:77], v[62:63]
	v_fma_f64 v[76:77], s[8:9], v[44:45], v[36:37]
	v_mul_f64 v[34:35], v[34:35], s[18:19]
	v_add_f64 v[60:61], v[76:77], v[60:61]
	v_fma_f64 v[76:77], v[50:51], s[12:13], -v[34:35]
	v_mul_f64 v[32:33], v[32:33], s[18:19]
	v_add_f64 v[62:63], v[76:77], v[62:63]
	v_fma_f64 v[76:77], s[12:13], v[48:49], v[32:33]
	;; [unrolled: 6-line block ×3, first 2 shown]
	v_add_f64 v[60:61], v[76:77], v[60:61]
	v_mul_f64 v[76:77], v[22:23], s[14:15]
	v_fmac_f64_e32 v[38:39], s[8:9], v[46:47]
	v_fma_f64 v[36:37], v[44:45], s[8:9], -v[36:37]
	v_fma_f64 v[22:23], v[30:31], s[10:11], -v[76:77]
	v_add_f64 v[38:39], v[38:39], v[54:55]
	v_add_f64 v[36:37], v[36:37], v[52:53]
	v_fmac_f64_e32 v[34:35], s[12:13], v[50:51]
	v_fma_f64 v[32:33], v[48:49], s[12:13], -v[32:33]
	v_add_f64 v[22:23], v[22:23], v[62:63]
	v_mul_f64 v[62:63], v[20:21], s[14:15]
	v_add_f64 v[34:35], v[34:35], v[38:39]
	v_add_f64 v[32:33], v[32:33], v[36:37]
	v_fmac_f64_e32 v[26:27], s[6:7], v[42:43]
	v_fma_f64 v[24:25], v[40:41], s[6:7], -v[24:25]
	v_fma_f64 v[20:21], s[10:11], v[28:29], v[62:63]
	v_mul_f64 v[70:71], v[70:71], s[26:27]
	v_mul_f64 v[68:69], v[68:69], s[26:27]
	v_add_f64 v[26:27], v[26:27], v[34:35]
	v_add_f64 v[24:25], v[24:25], v[32:33]
	v_fmac_f64_e32 v[76:77], s[10:11], v[30:31]
	v_fma_f64 v[28:29], v[28:29], s[10:11], -v[62:63]
	v_add_f64 v[60:61], v[20:21], v[60:61]
	v_fma_f64 v[20:21], v[66:67], s[2:3], -v[70:71]
	v_add_f64 v[26:27], v[76:77], v[26:27]
	v_add_f64 v[28:29], v[28:29], v[24:25]
	v_fmac_f64_e32 v[70:71], s[2:3], v[66:67]
	v_fma_f64 v[30:31], v[64:65], s[2:3], -v[68:69]
	v_add_f64 v[20:21], v[20:21], v[22:23]
	v_fma_f64 v[22:23], s[2:3], v[64:65], v[68:69]
	v_add_f64 v[24:25], v[70:71], v[26:27]
	v_add_f64 v[26:27], v[30:31], v[28:29]
	v_mul_u32_u24_e32 v28, 0xd0, v83
	v_add_f64 v[22:23], v[22:23], v[60:61]
	v_add3_u32 v28, 0, v28, v81
	s_waitcnt lgkmcnt(0)
	; wave barrier
	ds_write_b128 v28, v[0:3]
	ds_write_b128 v28, v[8:11] offset:16
	ds_write_b128 v28, v[16:19] offset:32
	;; [unrolled: 1-line block ×12, first 2 shown]
	s_waitcnt lgkmcnt(0)
	; wave barrier
	s_waitcnt lgkmcnt(0)
	ds_read_b128 v[8:11], v82
	ds_read_b128 v[12:15], v84 offset:32
	ds_read_b128 v[32:35], v84 offset:208
	;; [unrolled: 1-line block ×11, first 2 shown]
	v_mov_b64_e32 v[60:61], 0
                                        ; implicit-def: $vgpr2_vgpr3
	s_and_saveexec_b64 s[2:3], s[0:1]
	s_cbranch_execz .LBB0_21
; %bb.20:
	ds_read_b128 v[4:7], v58 offset:192
	ds_read_b128 v[0:3], v58 offset:400
	v_mov_b64_e32 v[60:61], 12
.LBB0_21:
	s_or_b64 exec, exec, s[2:3]
	global_load_dwordx4 v[62:65], v80, s[4:5]
	global_load_dwordx4 v[66:69], v79, s[4:5] offset:32
	global_load_dwordx4 v[70:73], v79, s[4:5] offset:64
	global_load_dwordx4 v[74:77], v79, s[4:5] offset:96
	global_load_dwordx4 v[86:89], v79, s[4:5] offset:128
	global_load_dwordx4 v[90:93], v79, s[4:5] offset:160
	v_lshl_add_u32 v61, v78, 4, v85
	s_waitcnt lgkmcnt(0)
	; wave barrier
	s_waitcnt vmcnt(5) lgkmcnt(0)
	v_mul_f64 v[78:79], v[34:35], v[64:65]
	v_mul_f64 v[64:65], v[32:33], v[64:65]
	s_waitcnt vmcnt(4)
	v_mul_f64 v[80:81], v[38:39], v[68:69]
	v_mul_f64 v[68:69], v[36:37], v[68:69]
	s_waitcnt vmcnt(3)
	v_mul_f64 v[82:83], v[46:47], v[72:73]
	v_mul_f64 v[72:73], v[44:45], v[72:73]
	s_waitcnt vmcnt(2)
	v_mul_f64 v[94:95], v[42:43], v[76:77]
	v_mul_f64 v[76:77], v[40:41], v[76:77]
	s_waitcnt vmcnt(1)
	v_mul_f64 v[96:97], v[54:55], v[88:89]
	v_mul_f64 v[88:89], v[52:53], v[88:89]
	s_waitcnt vmcnt(0)
	v_mul_f64 v[98:99], v[50:51], v[92:93]
	v_mul_f64 v[92:93], v[48:49], v[92:93]
	v_fma_f64 v[32:33], v[32:33], v[62:63], -v[78:79]
	v_fmac_f64_e32 v[64:65], v[34:35], v[62:63]
	v_fma_f64 v[36:37], v[36:37], v[66:67], -v[80:81]
	v_fmac_f64_e32 v[68:69], v[38:39], v[66:67]
	;; [unrolled: 2-line block ×6, first 2 shown]
	v_add_f64 v[32:33], v[8:9], -v[32:33]
	v_add_f64 v[34:35], v[10:11], -v[64:65]
	v_add_f64 v[36:37], v[12:13], -v[36:37]
	v_add_f64 v[38:39], v[14:15], -v[68:69]
	v_add_f64 v[40:41], v[16:17], -v[44:45]
	v_add_f64 v[42:43], v[18:19], -v[72:73]
	v_add_f64 v[44:45], v[20:21], -v[46:47]
	v_add_f64 v[46:47], v[22:23], -v[76:77]
	v_add_f64 v[48:49], v[24:25], -v[52:53]
	v_add_f64 v[50:51], v[26:27], -v[88:89]
	v_add_f64 v[52:53], v[28:29], -v[54:55]
	v_add_f64 v[54:55], v[30:31], -v[92:93]
	v_fma_f64 v[8:9], v[8:9], 2.0, -v[32:33]
	v_fma_f64 v[10:11], v[10:11], 2.0, -v[34:35]
	;; [unrolled: 1-line block ×12, first 2 shown]
	ds_write_b128 v84, v[32:35] offset:208
	ds_write_b128 v61, v[36:39] offset:240
	;; [unrolled: 1-line block ×5, first 2 shown]
	ds_write_b128 v84, v[8:11]
	ds_write_b128 v84, v[12:15] offset:32
	ds_write_b128 v84, v[16:19] offset:64
	;; [unrolled: 1-line block ×6, first 2 shown]
	s_and_saveexec_b64 s[2:3], s[0:1]
	s_cbranch_execz .LBB0_23
; %bb.22:
	v_lshlrev_b32_e32 v8, 4, v60
	global_load_dwordx4 v[8:11], v8, s[4:5]
	s_waitcnt vmcnt(0)
	v_mul_f64 v[12:13], v[0:1], v[10:11]
	v_mul_f64 v[10:11], v[2:3], v[10:11]
	v_fmac_f64_e32 v[12:13], v[2:3], v[8:9]
	v_fma_f64 v[0:1], v[0:1], v[8:9], -v[10:11]
	v_add_f64 v[2:3], v[6:7], -v[12:13]
	v_add_f64 v[0:1], v[4:5], -v[0:1]
	v_fma_f64 v[6:7], v[6:7], 2.0, -v[2:3]
	v_fma_f64 v[4:5], v[4:5], 2.0, -v[0:1]
	ds_write_b128 v58, v[4:7] offset:192
	ds_write_b128 v58, v[0:3] offset:400
.LBB0_23:
	s_or_b64 exec, exec, s[2:3]
	s_waitcnt lgkmcnt(0)
	; wave barrier
	s_waitcnt lgkmcnt(0)
	s_and_saveexec_b64 s[0:1], vcc
	s_cbranch_execz .LBB0_25
; %bb.24:
	v_lshl_add_u32 v12, v59, 4, v58
	ds_read_b128 v[0:3], v12
	ds_read_b128 v[4:7], v12 offset:32
	v_mov_b32_e32 v9, 0
	v_mov_b32_e32 v8, v59
	v_lshl_add_u64 v[10:11], v[8:9], 4, v[56:57]
	s_waitcnt lgkmcnt(1)
	global_store_dwordx4 v[10:11], v[0:3], off
	ds_read_b128 v[0:3], v12 offset:64
	v_add_u32_e32 v8, 2, v59
	v_lshl_add_u64 v[10:11], v[8:9], 4, v[56:57]
	v_add_u32_e32 v8, 4, v59
	s_waitcnt lgkmcnt(1)
	global_store_dwordx4 v[10:11], v[4:7], off
	ds_read_b128 v[4:7], v12 offset:96
	v_lshl_add_u64 v[10:11], v[8:9], 4, v[56:57]
	s_waitcnt lgkmcnt(1)
	global_store_dwordx4 v[10:11], v[0:3], off
	ds_read_b128 v[0:3], v12 offset:128
	v_add_u32_e32 v8, 6, v59
	v_lshl_add_u64 v[10:11], v[8:9], 4, v[56:57]
	v_add_u32_e32 v8, 8, v59
	s_waitcnt lgkmcnt(1)
	global_store_dwordx4 v[10:11], v[4:7], off
	ds_read_b128 v[4:7], v12 offset:160
	;; [unrolled: 10-line block ×5, first 2 shown]
	v_lshl_add_u64 v[10:11], v[8:9], 4, v[56:57]
	s_waitcnt lgkmcnt(1)
	global_store_dwordx4 v[10:11], v[0:3], off
	ds_read_b128 v[0:3], v12 offset:384
	v_add_u32_e32 v8, 22, v59
	v_lshl_add_u64 v[10:11], v[8:9], 4, v[56:57]
	v_add_u32_e32 v8, 24, v59
	s_waitcnt lgkmcnt(1)
	global_store_dwordx4 v[10:11], v[4:7], off
	s_nop 1
	v_lshl_add_u64 v[4:5], v[8:9], 4, v[56:57]
	s_waitcnt lgkmcnt(0)
	global_store_dwordx4 v[4:5], v[0:3], off
.LBB0_25:
	s_endpgm
	.section	.rodata,"a",@progbits
	.p2align	6, 0x0
	.amdhsa_kernel fft_rtc_fwd_len26_factors_13_2_wgs_64_tpt_2_halfLds_dp_ip_CI_unitstride_sbrr_C2R_dirReg
		.amdhsa_group_segment_fixed_size 0
		.amdhsa_private_segment_fixed_size 0
		.amdhsa_kernarg_size 88
		.amdhsa_user_sgpr_count 2
		.amdhsa_user_sgpr_dispatch_ptr 0
		.amdhsa_user_sgpr_queue_ptr 0
		.amdhsa_user_sgpr_kernarg_segment_ptr 1
		.amdhsa_user_sgpr_dispatch_id 0
		.amdhsa_user_sgpr_kernarg_preload_length 0
		.amdhsa_user_sgpr_kernarg_preload_offset 0
		.amdhsa_user_sgpr_private_segment_size 0
		.amdhsa_uses_dynamic_stack 0
		.amdhsa_enable_private_segment 0
		.amdhsa_system_sgpr_workgroup_id_x 1
		.amdhsa_system_sgpr_workgroup_id_y 0
		.amdhsa_system_sgpr_workgroup_id_z 0
		.amdhsa_system_sgpr_workgroup_info 0
		.amdhsa_system_vgpr_workitem_id 0
		.amdhsa_next_free_vgpr 126
		.amdhsa_next_free_sgpr 36
		.amdhsa_accum_offset 128
		.amdhsa_reserve_vcc 1
		.amdhsa_float_round_mode_32 0
		.amdhsa_float_round_mode_16_64 0
		.amdhsa_float_denorm_mode_32 3
		.amdhsa_float_denorm_mode_16_64 3
		.amdhsa_dx10_clamp 1
		.amdhsa_ieee_mode 1
		.amdhsa_fp16_overflow 0
		.amdhsa_tg_split 0
		.amdhsa_exception_fp_ieee_invalid_op 0
		.amdhsa_exception_fp_denorm_src 0
		.amdhsa_exception_fp_ieee_div_zero 0
		.amdhsa_exception_fp_ieee_overflow 0
		.amdhsa_exception_fp_ieee_underflow 0
		.amdhsa_exception_fp_ieee_inexact 0
		.amdhsa_exception_int_div_zero 0
	.end_amdhsa_kernel
	.text
.Lfunc_end0:
	.size	fft_rtc_fwd_len26_factors_13_2_wgs_64_tpt_2_halfLds_dp_ip_CI_unitstride_sbrr_C2R_dirReg, .Lfunc_end0-fft_rtc_fwd_len26_factors_13_2_wgs_64_tpt_2_halfLds_dp_ip_CI_unitstride_sbrr_C2R_dirReg
                                        ; -- End function
	.section	.AMDGPU.csdata,"",@progbits
; Kernel info:
; codeLenInByte = 7536
; NumSgprs: 42
; NumVgprs: 126
; NumAgprs: 0
; TotalNumVgprs: 126
; ScratchSize: 0
; MemoryBound: 0
; FloatMode: 240
; IeeeMode: 1
; LDSByteSize: 0 bytes/workgroup (compile time only)
; SGPRBlocks: 5
; VGPRBlocks: 15
; NumSGPRsForWavesPerEU: 42
; NumVGPRsForWavesPerEU: 126
; AccumOffset: 128
; Occupancy: 4
; WaveLimiterHint : 1
; COMPUTE_PGM_RSRC2:SCRATCH_EN: 0
; COMPUTE_PGM_RSRC2:USER_SGPR: 2
; COMPUTE_PGM_RSRC2:TRAP_HANDLER: 0
; COMPUTE_PGM_RSRC2:TGID_X_EN: 1
; COMPUTE_PGM_RSRC2:TGID_Y_EN: 0
; COMPUTE_PGM_RSRC2:TGID_Z_EN: 0
; COMPUTE_PGM_RSRC2:TIDIG_COMP_CNT: 0
; COMPUTE_PGM_RSRC3_GFX90A:ACCUM_OFFSET: 31
; COMPUTE_PGM_RSRC3_GFX90A:TG_SPLIT: 0
	.text
	.p2alignl 6, 3212836864
	.fill 256, 4, 3212836864
	.type	__hip_cuid_1d7a7354eb54af98,@object ; @__hip_cuid_1d7a7354eb54af98
	.section	.bss,"aw",@nobits
	.globl	__hip_cuid_1d7a7354eb54af98
__hip_cuid_1d7a7354eb54af98:
	.byte	0                               ; 0x0
	.size	__hip_cuid_1d7a7354eb54af98, 1

	.ident	"AMD clang version 19.0.0git (https://github.com/RadeonOpenCompute/llvm-project roc-6.4.0 25133 c7fe45cf4b819c5991fe208aaa96edf142730f1d)"
	.section	".note.GNU-stack","",@progbits
	.addrsig
	.addrsig_sym __hip_cuid_1d7a7354eb54af98
	.amdgpu_metadata
---
amdhsa.kernels:
  - .agpr_count:     0
    .args:
      - .actual_access:  read_only
        .address_space:  global
        .offset:         0
        .size:           8
        .value_kind:     global_buffer
      - .offset:         8
        .size:           8
        .value_kind:     by_value
      - .actual_access:  read_only
        .address_space:  global
        .offset:         16
        .size:           8
        .value_kind:     global_buffer
      - .actual_access:  read_only
        .address_space:  global
        .offset:         24
        .size:           8
        .value_kind:     global_buffer
      - .offset:         32
        .size:           8
        .value_kind:     by_value
      - .actual_access:  read_only
        .address_space:  global
        .offset:         40
        .size:           8
        .value_kind:     global_buffer
      - .actual_access:  read_only
        .address_space:  global
        .offset:         48
        .size:           8
        .value_kind:     global_buffer
      - .offset:         56
        .size:           4
        .value_kind:     by_value
      - .actual_access:  read_only
        .address_space:  global
        .offset:         64
        .size:           8
        .value_kind:     global_buffer
      - .actual_access:  read_only
        .address_space:  global
        .offset:         72
        .size:           8
        .value_kind:     global_buffer
      - .address_space:  global
        .offset:         80
        .size:           8
        .value_kind:     global_buffer
    .group_segment_fixed_size: 0
    .kernarg_segment_align: 8
    .kernarg_segment_size: 88
    .language:       OpenCL C
    .language_version:
      - 2
      - 0
    .max_flat_workgroup_size: 64
    .name:           fft_rtc_fwd_len26_factors_13_2_wgs_64_tpt_2_halfLds_dp_ip_CI_unitstride_sbrr_C2R_dirReg
    .private_segment_fixed_size: 0
    .sgpr_count:     42
    .sgpr_spill_count: 0
    .symbol:         fft_rtc_fwd_len26_factors_13_2_wgs_64_tpt_2_halfLds_dp_ip_CI_unitstride_sbrr_C2R_dirReg.kd
    .uniform_work_group_size: 1
    .uses_dynamic_stack: false
    .vgpr_count:     126
    .vgpr_spill_count: 0
    .wavefront_size: 64
amdhsa.target:   amdgcn-amd-amdhsa--gfx950
amdhsa.version:
  - 1
  - 2
...

	.end_amdgpu_metadata
